;; amdgpu-corpus repo=ROCm/rocFFT kind=compiled arch=gfx1030 opt=O3
	.text
	.amdgcn_target "amdgcn-amd-amdhsa--gfx1030"
	.amdhsa_code_object_version 6
	.protected	bluestein_single_fwd_len72_dim1_dp_op_CI_CI ; -- Begin function bluestein_single_fwd_len72_dim1_dp_op_CI_CI
	.globl	bluestein_single_fwd_len72_dim1_dp_op_CI_CI
	.p2align	8
	.type	bluestein_single_fwd_len72_dim1_dp_op_CI_CI,@function
bluestein_single_fwd_len72_dim1_dp_op_CI_CI: ; @bluestein_single_fwd_len72_dim1_dp_op_CI_CI
; %bb.0:
	s_load_dwordx4 s[8:11], s[4:5], 0x28
	v_mul_u32_u24_e32 v1, 0x1c72, v0
	s_mov_b32 s0, exec_lo
	v_lshrrev_b32_e32 v1, 16, v1
	v_mad_u64_u32 v[116:117], null, s6, 7, v[1:2]
	v_mov_b32_e32 v117, 0
	s_waitcnt lgkmcnt(0)
	v_cmpx_gt_u64_e64 s[8:9], v[116:117]
	s_cbranch_execz .LBB0_18
; %bb.1:
	s_clause 0x1
	s_load_dwordx4 s[0:3], s[4:5], 0x18
	s_load_dwordx4 s[12:15], s[4:5], 0x0
	v_mul_lo_u16 v1, v1, 9
	v_mul_hi_u32 v65, 0x24924925, v116
	v_sub_nc_u16 v40, v0, v1
	v_sub_nc_u32_e32 v66, v116, v65
	v_and_b32_e32 v119, 0xffff, v40
	v_lshrrev_b32_e32 v66, 1, v66
	v_lshlrev_b32_e32 v122, 4, v119
	s_waitcnt lgkmcnt(0)
	s_load_dwordx4 s[16:19], s[0:1], 0x0
	v_add_nc_u32_e32 v65, v66, v65
	v_lshrrev_b32_e32 v65, 2, v65
	v_mul_lo_u32 v97, v65, 7
	v_sub_nc_u32_e32 v97, v116, v97
	s_waitcnt lgkmcnt(0)
	v_mad_u64_u32 v[0:1], null, s18, v116, 0
	v_mad_u64_u32 v[2:3], null, s16, v119, 0
	s_mul_i32 s0, s17, 0x90
	s_mul_hi_u32 s1, s16, 0x90
	s_mul_i32 s6, s16, 0x90
	s_add_i32 s1, s1, s0
	v_mul_u32_u24_e32 v97, 0x48, v97
	v_mad_u64_u32 v[4:5], null, s19, v116, v[1:2]
	v_lshlrev_b32_e32 v121, 4, v97
	v_add_nc_u32_e32 v120, v122, v121
	v_mad_u64_u32 v[5:6], null, s17, v119, v[3:4]
	v_mov_b32_e32 v1, v4
	v_lshlrev_b64 v[0:1], 4, v[0:1]
	v_mov_b32_e32 v3, v5
	v_add_co_u32 v0, vcc_lo, s10, v0
	v_lshlrev_b64 v[2:3], 4, v[2:3]
	v_add_co_ci_u32_e32 v1, vcc_lo, s11, v1, vcc_lo
	v_add_co_u32 v24, vcc_lo, v0, v2
	v_add_co_ci_u32_e32 v25, vcc_lo, v1, v3, vcc_lo
	s_clause 0x1
	global_load_dwordx4 v[0:3], v122, s[12:13]
	global_load_dwordx4 v[4:7], v122, s[12:13] offset:144
	v_add_co_u32 v26, vcc_lo, v24, s6
	v_add_co_ci_u32_e32 v27, vcc_lo, s1, v25, vcc_lo
	s_clause 0x1
	global_load_dwordx4 v[8:11], v122, s[12:13] offset:288
	global_load_dwordx4 v[12:15], v122, s[12:13] offset:432
	v_add_co_u32 v28, vcc_lo, v26, s6
	v_add_co_ci_u32_e32 v29, vcc_lo, s1, v27, vcc_lo
	s_clause 0x1
	global_load_dwordx4 v[16:19], v122, s[12:13] offset:576
	global_load_dwordx4 v[20:23], v122, s[12:13] offset:720
	v_add_co_u32 v30, vcc_lo, v28, s6
	v_add_co_ci_u32_e32 v31, vcc_lo, s1, v29, vcc_lo
	s_clause 0x1
	global_load_dwordx4 v[32:35], v[24:25], off
	global_load_dwordx4 v[36:39], v[26:27], off
	v_add_co_u32 v49, vcc_lo, v30, s6
	v_add_co_ci_u32_e32 v50, vcc_lo, s1, v31, vcc_lo
	s_clause 0x1
	global_load_dwordx4 v[41:44], v[28:29], off
	global_load_dwordx4 v[45:48], v[30:31], off
	v_add_co_u32 v24, vcc_lo, v49, s6
	v_add_co_ci_u32_e32 v25, vcc_lo, s1, v50, vcc_lo
	global_load_dwordx4 v[49:52], v[49:50], off
	v_add_co_u32 v26, vcc_lo, v24, s6
	v_add_co_ci_u32_e32 v27, vcc_lo, s1, v25, vcc_lo
	v_add_co_u32 v61, vcc_lo, v26, s6
	v_add_co_ci_u32_e32 v62, vcc_lo, s1, v27, vcc_lo
	global_load_dwordx4 v[53:56], v[24:25], off
	global_load_dwordx4 v[57:60], v[26:27], off
	s_clause 0x1
	global_load_dwordx4 v[24:27], v122, s[12:13] offset:864
	global_load_dwordx4 v[28:31], v122, s[12:13] offset:1008
	global_load_dwordx4 v[61:64], v[61:62], off
	s_load_dwordx4 s[8:11], s[2:3], 0x0
	s_mov_b32 s0, 0x667f3bcd
	s_mov_b32 s1, 0xbfe6a09e
	;; [unrolled: 1-line block ×4, first 2 shown]
	v_cmp_gt_u16_e32 vcc_lo, 6, v40
	s_waitcnt vmcnt(9)
	v_mul_f64 v[65:66], v[34:35], v[2:3]
	v_mul_f64 v[67:68], v[32:33], v[2:3]
	s_waitcnt vmcnt(8)
	v_mul_f64 v[69:70], v[38:39], v[6:7]
	v_mul_f64 v[71:72], v[36:37], v[6:7]
	;; [unrolled: 3-line block ×8, first 2 shown]
	v_fma_f64 v[32:33], v[32:33], v[0:1], v[65:66]
	v_fma_f64 v[34:35], v[34:35], v[0:1], -v[67:68]
	v_fma_f64 v[36:37], v[36:37], v[4:5], v[69:70]
	v_fma_f64 v[38:39], v[38:39], v[4:5], -v[71:72]
	;; [unrolled: 2-line block ×4, first 2 shown]
	v_lshlrev_b16 v67, 3, v40
	v_fma_f64 v[49:50], v[49:50], v[16:17], v[81:82]
	v_fma_f64 v[51:52], v[51:52], v[16:17], -v[83:84]
	v_fma_f64 v[53:54], v[53:54], v[20:21], v[85:86]
	v_fma_f64 v[55:56], v[55:56], v[20:21], -v[87:88]
	;; [unrolled: 2-line block ×4, first 2 shown]
                                        ; implicit-def: $vgpr88_vgpr89
	ds_write_b128 v120, v[32:35]
	ds_write_b128 v120, v[36:39] offset:144
	ds_write_b128 v120, v[41:44] offset:288
	;; [unrolled: 1-line block ×7, first 2 shown]
	s_waitcnt lgkmcnt(0)
	s_barrier
	buffer_gl0_inv
	ds_read_b128 v[32:35], v120 offset:576
	ds_read_b128 v[36:39], v120
	ds_read_b128 v[41:44], v120 offset:288
	ds_read_b128 v[45:48], v120 offset:864
	;; [unrolled: 1-line block ×6, first 2 shown]
	s_waitcnt lgkmcnt(0)
	s_barrier
	buffer_gl0_inv
	v_add_f64 v[32:33], v[36:37], -v[32:33]
	v_add_f64 v[34:35], v[38:39], -v[34:35]
	;; [unrolled: 1-line block ×8, first 2 shown]
	v_fma_f64 v[36:37], v[36:37], 2.0, -v[32:33]
	v_fma_f64 v[38:39], v[38:39], 2.0, -v[34:35]
	;; [unrolled: 1-line block ×6, first 2 shown]
	v_add_f64 v[65:66], v[32:33], -v[47:48]
	v_add_f64 v[72:73], v[34:35], v[45:46]
	v_fma_f64 v[45:46], v[57:58], 2.0, -v[61:62]
	v_fma_f64 v[47:48], v[59:60], 2.0, -v[63:64]
	v_add_f64 v[57:58], v[53:54], -v[63:64]
	v_add_f64 v[59:60], v[55:56], v[61:62]
	v_add_f64 v[61:62], v[36:37], -v[41:42]
	v_add_f64 v[63:64], v[38:39], -v[43:44]
	v_fma_f64 v[74:75], v[32:33], 2.0, -v[65:66]
	v_fma_f64 v[76:77], v[34:35], 2.0, -v[72:73]
	v_add_f64 v[34:35], v[49:50], -v[45:46]
	v_add_f64 v[32:33], v[51:52], -v[47:48]
	v_fma_f64 v[43:44], v[53:54], 2.0, -v[57:58]
	v_fma_f64 v[41:42], v[55:56], 2.0, -v[59:60]
	v_fma_f64 v[45:46], v[57:58], s[2:3], v[65:66]
	v_fma_f64 v[47:48], v[59:60], s[2:3], v[72:73]
	v_fma_f64 v[53:54], v[36:37], 2.0, -v[61:62]
	v_fma_f64 v[55:56], v[38:39], 2.0, -v[63:64]
	;; [unrolled: 1-line block ×4, first 2 shown]
	v_fma_f64 v[49:50], v[43:44], s[0:1], v[74:75]
	v_fma_f64 v[51:52], v[41:42], s[0:1], v[76:77]
	v_add_f64 v[32:33], v[61:62], -v[32:33]
	v_add_f64 v[34:35], v[63:64], v[34:35]
	v_fma_f64 v[68:69], v[59:60], s[0:1], v[45:46]
	v_fma_f64 v[70:71], v[57:58], s[2:3], v[47:48]
	v_add_f64 v[36:37], v[53:54], -v[36:37]
	v_add_f64 v[38:39], v[55:56], -v[38:39]
	v_fma_f64 v[41:42], v[41:42], s[0:1], v[49:50]
	v_fma_f64 v[43:44], v[43:44], s[2:3], v[51:52]
	v_fma_f64 v[45:46], v[61:62], 2.0, -v[32:33]
	v_fma_f64 v[47:48], v[63:64], 2.0, -v[34:35]
	;; [unrolled: 1-line block ×4, first 2 shown]
	v_and_b32_e32 v61, 0xffff, v67
	s_load_dwordx2 s[2:3], s[4:5], 0x38
	v_lshl_add_u32 v123, v61, 4, v121
	v_fma_f64 v[53:54], v[53:54], 2.0, -v[36:37]
	v_fma_f64 v[55:56], v[55:56], 2.0, -v[38:39]
	;; [unrolled: 1-line block ×4, first 2 shown]
	ds_write_b128 v123, v[32:35] offset:96
	ds_write_b128 v123, v[68:71] offset:112
	;; [unrolled: 1-line block ×6, first 2 shown]
	ds_write_b128 v123, v[53:56]
	ds_write_b128 v123, v[57:60] offset:16
	s_waitcnt lgkmcnt(0)
	s_barrier
	buffer_gl0_inv
	ds_read_b128 v[64:67], v120
	ds_read_b128 v[36:39], v120 offset:144
	ds_read_b128 v[80:83], v120 offset:384
	;; [unrolled: 1-line block ×5, first 2 shown]
	s_and_saveexec_b32 s0, vcc_lo
	s_cbranch_execz .LBB0_3
; %bb.2:
	ds_read_b128 v[32:35], v120 offset:288
	ds_read_b128 v[68:71], v120 offset:672
	;; [unrolled: 1-line block ×3, first 2 shown]
.LBB0_3:
	s_or_b32 exec_lo, exec_lo, s0
	v_add_co_u32 v124, null, v119, 9
	v_add_co_u32 v129, s0, v119, 18
	v_and_b32_e32 v131, 7, v119
	v_and_b32_e32 v132, 7, v124
	v_add_co_ci_u32_e64 v130, null, 0, 0, s0
	v_and_b32_e32 v133, 7, v129
	v_lshlrev_b32_e32 v40, 5, v131
	v_lshlrev_b32_e32 v41, 5, v132
	s_clause 0x1
	global_load_dwordx4 v[52:55], v40, s[14:15]
	global_load_dwordx4 v[48:51], v40, s[14:15] offset:16
	v_lshlrev_b32_e32 v56, 5, v133
	s_clause 0x3
	global_load_dwordx4 v[44:47], v41, s[14:15]
	global_load_dwordx4 v[40:43], v41, s[14:15] offset:16
	global_load_dwordx4 v[60:63], v56, s[14:15]
	global_load_dwordx4 v[56:59], v56, s[14:15] offset:16
	s_mov_b32 s0, 0xe8584caa
	s_mov_b32 s1, 0x3febb67a
	;; [unrolled: 1-line block ×4, first 2 shown]
	v_lshrrev_b32_e32 v134, 3, v119
	v_lshrrev_b32_e32 v135, 3, v124
	s_waitcnt vmcnt(0) lgkmcnt(0)
	s_barrier
	buffer_gl0_inv
	v_mul_f64 v[92:93], v[82:83], v[54:55]
	v_mul_f64 v[94:95], v[80:81], v[54:55]
	;; [unrolled: 1-line block ×12, first 2 shown]
	v_fma_f64 v[80:81], v[80:81], v[52:53], -v[92:93]
	v_fma_f64 v[82:83], v[82:83], v[52:53], v[94:95]
	v_fma_f64 v[84:85], v[84:85], v[48:49], -v[96:97]
	v_fma_f64 v[86:87], v[86:87], v[48:49], v[98:99]
	;; [unrolled: 2-line block ×6, first 2 shown]
	v_add_f64 v[104:105], v[64:65], v[80:81]
	v_add_f64 v[92:93], v[80:81], v[84:85]
	;; [unrolled: 1-line block ×3, first 2 shown]
	v_add_f64 v[106:107], v[82:83], -v[86:87]
	v_add_f64 v[82:83], v[66:67], v[82:83]
	v_add_f64 v[96:97], v[72:73], v[76:77]
	;; [unrolled: 1-line block ×3, first 2 shown]
	v_add_f64 v[80:81], v[80:81], -v[84:85]
	v_add_f64 v[108:109], v[36:37], v[72:73]
	v_add_f64 v[100:101], v[68:69], v[88:89]
	v_add_f64 v[102:103], v[70:71], v[90:91]
	v_add_f64 v[110:111], v[38:39], v[74:75]
	v_add_f64 v[112:113], v[32:33], v[68:69]
	v_add_f64 v[114:115], v[34:35], v[70:71]
	v_add_f64 v[74:75], v[74:75], -v[78:79]
	v_add_f64 v[117:118], v[72:73], -v[76:77]
	;; [unrolled: 1-line block ×4, first 2 shown]
	v_fma_f64 v[92:93], v[92:93], -0.5, v[64:65]
	v_fma_f64 v[94:95], v[94:95], -0.5, v[66:67]
	;; [unrolled: 1-line block ×4, first 2 shown]
	v_add_f64 v[36:37], v[108:109], v[76:77]
	v_fma_f64 v[100:101], v[100:101], -0.5, v[32:33]
	v_fma_f64 v[102:103], v[102:103], -0.5, v[34:35]
	v_add_f64 v[32:33], v[104:105], v[84:85]
	v_add_f64 v[34:35], v[82:83], v[86:87]
	;; [unrolled: 1-line block ×5, first 2 shown]
	v_fma_f64 v[64:65], v[106:107], s[0:1], v[92:93]
	v_fma_f64 v[68:69], v[106:107], s[4:5], v[92:93]
	;; [unrolled: 1-line block ×12, first 2 shown]
	v_mul_u32_u24_e32 v80, 24, v134
	v_mul_u32_u24_e32 v81, 24, v135
	v_lshl_or_b32 v126, v129, 4, 0x380
	v_lshl_add_u32 v125, v133, 4, v121
	v_or_b32_e32 v80, v80, v131
	v_or_b32_e32 v81, v81, v132
	v_lshl_add_u32 v128, v80, 4, v121
	v_lshl_add_u32 v127, v81, 4, v121
	ds_write_b128 v128, v[32:35]
	ds_write_b128 v128, v[64:67] offset:128
	ds_write_b128 v128, v[68:71] offset:256
	ds_write_b128 v127, v[36:39]
	ds_write_b128 v127, v[72:75] offset:128
	ds_write_b128 v127, v[76:79] offset:256
	s_and_saveexec_b32 s0, vcc_lo
	s_cbranch_execz .LBB0_5
; %bb.4:
	v_add_nc_u32_e32 v32, v121, v126
	ds_write_b128 v125, v[84:87] offset:768
	ds_write_b128 v32, v[92:95]
	ds_write_b128 v125, v[96:99] offset:1024
.LBB0_5:
	s_or_b32 exec_lo, exec_lo, s0
	s_waitcnt lgkmcnt(0)
	s_barrier
	buffer_gl0_inv
	ds_read_b128 v[88:91], v120
	ds_read_b128 v[80:83], v120 offset:144
	ds_read_b128 v[108:111], v120 offset:384
	;; [unrolled: 1-line block ×5, first 2 shown]
	v_add_co_u32 v117, s0, s12, v122
	v_add_co_ci_u32_e64 v118, null, s13, 0, s0
	s_and_saveexec_b32 s0, vcc_lo
	s_cbranch_execz .LBB0_7
; %bb.6:
	ds_read_b128 v[84:87], v120 offset:288
	ds_read_b128 v[92:95], v120 offset:672
	;; [unrolled: 1-line block ×3, first 2 shown]
.LBB0_7:
	s_or_b32 exec_lo, exec_lo, s0
	v_add_co_u32 v32, s0, v119, -6
	v_add_co_ci_u32_e64 v33, null, 0, -1, s0
	v_lshlrev_b32_e32 v34, 5, v119
	v_cndmask_b32_e32 v32, v32, v129, vcc_lo
	v_lshlrev_b32_e32 v35, 5, v124
	v_cndmask_b32_e32 v33, v33, v130, vcc_lo
	s_clause 0x1
	global_load_dwordx4 v[64:67], v34, s[14:15] offset:272
	global_load_dwordx4 v[76:79], v34, s[14:15] offset:256
	v_lshl_add_u32 v124, v119, 4, v121
	v_lshlrev_b64 v[32:33], 5, v[32:33]
	v_add_co_u32 v32, s0, s14, v32
	v_add_co_ci_u32_e64 v33, s0, s15, v33, s0
	s_mov_b32 s0, 0xe8584caa
	s_clause 0x3
	global_load_dwordx4 v[72:75], v35, s[14:15] offset:256
	global_load_dwordx4 v[68:71], v35, s[14:15] offset:272
	global_load_dwordx4 v[36:39], v[32:33], off offset:256
	global_load_dwordx4 v[32:35], v[32:33], off offset:272
	s_mov_b32 s1, 0x3febb67a
	s_mov_b32 s4, s0
	s_waitcnt vmcnt(5) lgkmcnt(1)
	v_mul_f64 v[133:134], v[114:115], v[66:67]
	s_waitcnt vmcnt(4)
	v_mul_f64 v[129:130], v[110:111], v[78:79]
	v_mul_f64 v[131:132], v[108:109], v[78:79]
	;; [unrolled: 1-line block ×3, first 2 shown]
	s_waitcnt vmcnt(3)
	v_mul_f64 v[137:138], v[102:103], v[74:75]
	v_mul_f64 v[139:140], v[100:101], v[74:75]
	s_waitcnt vmcnt(2) lgkmcnt(0)
	v_mul_f64 v[141:142], v[106:107], v[70:71]
	v_mul_f64 v[143:144], v[104:105], v[70:71]
	s_waitcnt vmcnt(1)
	v_mul_f64 v[145:146], v[94:95], v[38:39]
	v_mul_f64 v[147:148], v[92:93], v[38:39]
	s_waitcnt vmcnt(0)
	v_mul_f64 v[149:150], v[98:99], v[34:35]
	v_mul_f64 v[151:152], v[96:97], v[34:35]
	v_fma_f64 v[112:113], v[112:113], v[64:65], -v[133:134]
	v_fma_f64 v[108:109], v[108:109], v[76:77], -v[129:130]
	v_fma_f64 v[110:111], v[110:111], v[76:77], v[131:132]
	v_fma_f64 v[114:115], v[114:115], v[64:65], v[135:136]
	v_fma_f64 v[129:130], v[100:101], v[72:73], -v[137:138]
	v_fma_f64 v[131:132], v[102:103], v[72:73], v[139:140]
	v_fma_f64 v[133:134], v[104:105], v[68:69], -v[141:142]
	;; [unrolled: 2-line block ×4, first 2 shown]
	v_fma_f64 v[94:95], v[98:99], v[32:33], v[151:152]
	v_add_f64 v[96:97], v[108:109], v[112:113]
	v_add_f64 v[141:142], v[88:89], v[108:109]
	;; [unrolled: 1-line block ×3, first 2 shown]
	v_add_f64 v[143:144], v[110:111], -v[114:115]
	v_add_f64 v[110:111], v[90:91], v[110:111]
	v_add_f64 v[145:146], v[108:109], -v[112:113]
	v_add_f64 v[108:109], v[80:81], v[129:130]
	v_add_f64 v[147:148], v[82:83], v[131:132]
	;; [unrolled: 1-line block ×4, first 2 shown]
	v_add_f64 v[151:152], v[131:132], -v[135:136]
	v_add_f64 v[153:154], v[129:130], -v[133:134]
	v_add_f64 v[137:138], v[100:101], v[92:93]
	v_add_f64 v[139:140], v[102:103], v[94:95]
	v_fma_f64 v[149:150], v[96:97], -0.5, v[88:89]
	v_fma_f64 v[131:132], v[98:99], -0.5, v[90:91]
	v_add_f64 v[90:91], v[102:103], -v[94:95]
	v_add_f64 v[98:99], v[100:101], -v[92:93]
	v_add_f64 v[108:109], v[108:109], v[133:134]
	v_fma_f64 v[80:81], v[104:105], -0.5, v[80:81]
	v_fma_f64 v[82:83], v[106:107], -0.5, v[82:83]
	v_add_f64 v[104:105], v[141:142], v[112:113]
	v_add_f64 v[106:107], v[110:111], v[114:115]
	v_fma_f64 v[88:89], v[137:138], -0.5, v[84:85]
	v_fma_f64 v[96:97], v[139:140], -0.5, v[86:87]
	v_add_f64 v[110:111], v[147:148], v[135:136]
	v_fma_f64 v[112:113], v[143:144], s[0:1], v[149:150]
	v_fma_f64 v[129:130], v[143:144], s[4:5], v[149:150]
	;; [unrolled: 1-line block ×10, first 2 shown]
	ds_write_b128 v120, v[104:107]
	ds_write_b128 v124, v[112:115] offset:384
	ds_write_b128 v124, v[129:132] offset:768
	;; [unrolled: 1-line block ×5, first 2 shown]
	s_and_saveexec_b32 s4, vcc_lo
	s_cbranch_execz .LBB0_9
; %bb.8:
	v_add_f64 v[102:103], v[86:87], v[102:103]
	v_add_f64 v[84:85], v[84:85], v[100:101]
	v_mul_f64 v[98:99], v[98:99], s[0:1]
	v_mul_f64 v[90:91], v[90:91], s[0:1]
	v_add_f64 v[94:95], v[102:103], v[94:95]
	v_add_f64 v[92:93], v[84:85], v[92:93]
	v_add_f64 v[86:87], v[96:97], -v[98:99]
	v_add_f64 v[84:85], v[90:91], v[88:89]
	ds_write_b128 v120, v[92:95] offset:288
	ds_write_b128 v124, v[84:87] offset:672
	;; [unrolled: 1-line block ×3, first 2 shown]
.LBB0_9:
	s_or_b32 exec_lo, exec_lo, s4
	s_add_u32 s0, s12, 0x480
	s_addc_u32 s1, s13, 0
	s_waitcnt lgkmcnt(0)
	s_barrier
	buffer_gl0_inv
	s_clause 0x7
	global_load_dwordx4 v[84:87], v[117:118], off offset:1152
	global_load_dwordx4 v[88:91], v122, s[0:1] offset:144
	global_load_dwordx4 v[92:95], v122, s[0:1] offset:288
	;; [unrolled: 1-line block ×7, first 2 shown]
	ds_read_b128 v[129:132], v120
	ds_read_b128 v[133:136], v120 offset:144
	ds_read_b128 v[137:140], v124 offset:288
	;; [unrolled: 1-line block ×7, first 2 shown]
	s_mov_b32 s0, 0x667f3bcd
	s_mov_b32 s1, 0xbfe6a09e
	;; [unrolled: 1-line block ×4, first 2 shown]
	s_waitcnt vmcnt(7) lgkmcnt(7)
	v_mul_f64 v[117:118], v[131:132], v[86:87]
	v_mul_f64 v[86:87], v[129:130], v[86:87]
	s_waitcnt vmcnt(6) lgkmcnt(6)
	v_mul_f64 v[161:162], v[135:136], v[90:91]
	v_mul_f64 v[90:91], v[133:134], v[90:91]
	;; [unrolled: 3-line block ×8, first 2 shown]
	v_fma_f64 v[129:130], v[129:130], v[84:85], -v[117:118]
	v_fma_f64 v[131:132], v[131:132], v[84:85], v[86:87]
	v_fma_f64 v[84:85], v[133:134], v[88:89], -v[161:162]
	v_fma_f64 v[86:87], v[135:136], v[88:89], v[90:91]
	;; [unrolled: 2-line block ×8, first 2 shown]
	ds_write_b128 v120, v[129:132]
	ds_write_b128 v120, v[84:87] offset:144
	ds_write_b128 v124, v[88:91] offset:288
	;; [unrolled: 1-line block ×7, first 2 shown]
	s_waitcnt lgkmcnt(0)
	s_barrier
	buffer_gl0_inv
	ds_read_b128 v[84:87], v120
	ds_read_b128 v[88:91], v120 offset:576
	ds_read_b128 v[92:95], v124 offset:288
	;; [unrolled: 1-line block ×7, first 2 shown]
	s_waitcnt lgkmcnt(0)
	s_barrier
	buffer_gl0_inv
	v_add_f64 v[88:89], v[84:85], -v[88:89]
	v_add_f64 v[90:91], v[86:87], -v[90:91]
	;; [unrolled: 1-line block ×8, first 2 shown]
	v_fma_f64 v[84:85], v[84:85], 2.0, -v[88:89]
	v_fma_f64 v[86:87], v[86:87], 2.0, -v[90:91]
	;; [unrolled: 1-line block ×6, first 2 shown]
	v_add_f64 v[117:118], v[88:89], v[98:99]
	v_add_f64 v[129:130], v[90:91], -v[96:97]
	v_fma_f64 v[96:97], v[108:109], 2.0, -v[112:113]
	v_fma_f64 v[98:99], v[110:111], 2.0, -v[114:115]
	v_add_f64 v[108:109], v[100:101], v[114:115]
	v_add_f64 v[110:111], v[102:103], -v[112:113]
	v_add_f64 v[112:113], v[84:85], -v[92:93]
	;; [unrolled: 1-line block ×3, first 2 shown]
	v_fma_f64 v[131:132], v[88:89], 2.0, -v[117:118]
	v_fma_f64 v[133:134], v[90:91], 2.0, -v[129:130]
	v_add_f64 v[88:89], v[104:105], -v[96:97]
	v_add_f64 v[90:91], v[106:107], -v[98:99]
	v_fma_f64 v[94:95], v[100:101], 2.0, -v[108:109]
	v_fma_f64 v[92:93], v[102:103], 2.0, -v[110:111]
	v_fma_f64 v[96:97], v[108:109], s[4:5], v[117:118]
	v_fma_f64 v[98:99], v[110:111], s[4:5], v[129:130]
	v_fma_f64 v[135:136], v[84:85], 2.0, -v[112:113]
	v_fma_f64 v[137:138], v[86:87], 2.0, -v[114:115]
	;; [unrolled: 1-line block ×4, first 2 shown]
	v_fma_f64 v[104:105], v[94:95], s[0:1], v[131:132]
	v_fma_f64 v[106:107], v[92:93], s[0:1], v[133:134]
	v_add_f64 v[84:85], v[112:113], v[90:91]
	v_add_f64 v[86:87], v[114:115], -v[88:89]
	v_fma_f64 v[96:97], v[110:111], s[4:5], v[96:97]
	v_fma_f64 v[98:99], v[108:109], s[0:1], v[98:99]
	v_add_f64 v[88:89], v[135:136], -v[100:101]
	v_add_f64 v[90:91], v[137:138], -v[102:103]
	v_fma_f64 v[92:93], v[92:93], s[4:5], v[104:105]
	v_fma_f64 v[94:95], v[94:95], s[0:1], v[106:107]
	v_fma_f64 v[100:101], v[112:113], 2.0, -v[84:85]
	v_fma_f64 v[102:103], v[114:115], 2.0, -v[86:87]
	;; [unrolled: 1-line block ×8, first 2 shown]
	ds_write_b128 v123, v[84:87] offset:96
	ds_write_b128 v123, v[96:99] offset:112
	ds_write_b128 v123, v[100:103] offset:32
	ds_write_b128 v123, v[104:107] offset:48
	ds_write_b128 v123, v[88:91] offset:64
	ds_write_b128 v123, v[92:95] offset:80
	ds_write_b128 v123, v[108:111]
	ds_write_b128 v123, v[112:115] offset:16
	s_waitcnt lgkmcnt(0)
	s_barrier
	buffer_gl0_inv
	ds_read_b128 v[92:95], v120
	ds_read_b128 v[88:91], v120 offset:144
	ds_read_b128 v[108:111], v120 offset:384
	;; [unrolled: 1-line block ×5, first 2 shown]
	s_and_saveexec_b32 s0, vcc_lo
	s_cbranch_execz .LBB0_11
; %bb.10:
	ds_read_b128 v[84:87], v124 offset:288
	ds_read_b128 v[96:99], v120 offset:672
	;; [unrolled: 1-line block ×3, first 2 shown]
.LBB0_11:
	s_or_b32 exec_lo, exec_lo, s0
	s_waitcnt lgkmcnt(3)
	v_mul_f64 v[117:118], v[54:55], v[110:111]
	s_waitcnt lgkmcnt(1)
	v_mul_f64 v[122:123], v[50:51], v[114:115]
	v_mul_f64 v[54:55], v[54:55], v[108:109]
	;; [unrolled: 1-line block ×4, first 2 shown]
	s_waitcnt lgkmcnt(0)
	v_mul_f64 v[131:132], v[42:43], v[106:107]
	v_mul_f64 v[46:47], v[46:47], v[100:101]
	;; [unrolled: 1-line block ×7, first 2 shown]
	s_mov_b32 s0, 0xe8584caa
	s_mov_b32 s1, 0xbfebb67a
	;; [unrolled: 1-line block ×4, first 2 shown]
	s_barrier
	buffer_gl0_inv
	v_fma_f64 v[108:109], v[52:53], v[108:109], v[117:118]
	v_fma_f64 v[112:113], v[48:49], v[112:113], v[122:123]
	v_fma_f64 v[52:53], v[52:53], v[110:111], -v[54:55]
	v_fma_f64 v[48:49], v[48:49], v[114:115], -v[50:51]
	v_fma_f64 v[50:51], v[44:45], v[100:101], v[129:130]
	v_fma_f64 v[100:101], v[40:41], v[104:105], v[131:132]
	v_fma_f64 v[44:45], v[44:45], v[102:103], -v[46:47]
	v_fma_f64 v[40:41], v[40:41], v[106:107], -v[42:43]
	v_fma_f64 v[42:43], v[60:61], v[96:97], v[133:134]
	v_fma_f64 v[46:47], v[56:57], v[80:81], v[135:136]
	v_fma_f64 v[54:55], v[60:61], v[98:99], -v[62:63]
	v_fma_f64 v[60:61], v[56:57], v[82:83], -v[58:59]
	v_add_f64 v[98:99], v[92:93], v[108:109]
	v_add_f64 v[56:57], v[108:109], v[112:113]
	;; [unrolled: 1-line block ×12, first 2 shown]
	v_add_f64 v[44:45], v[44:45], -v[40:41]
	v_add_f64 v[50:51], v[50:51], -v[100:101]
	;; [unrolled: 1-line block ×6, first 2 shown]
	v_add_f64 v[52:53], v[98:99], v[112:113]
	v_fma_f64 v[92:93], v[56:57], -0.5, v[92:93]
	v_add_f64 v[54:55], v[104:105], v[48:49]
	v_fma_f64 v[94:95], v[58:59], -0.5, v[94:95]
	;; [unrolled: 2-line block ×6, first 2 shown]
	v_fma_f64 v[60:61], v[102:103], s[0:1], v[92:93]
	v_fma_f64 v[80:81], v[102:103], s[4:5], v[92:93]
	;; [unrolled: 1-line block ×12, first 2 shown]
	ds_write_b128 v128, v[52:55]
	ds_write_b128 v128, v[60:63] offset:128
	ds_write_b128 v128, v[80:83] offset:256
	ds_write_b128 v127, v[56:59]
	ds_write_b128 v127, v[84:87] offset:128
	ds_write_b128 v127, v[88:91] offset:256
	s_and_saveexec_b32 s0, vcc_lo
	s_cbranch_execz .LBB0_13
; %bb.12:
	v_add_nc_u32_e32 v52, v121, v126
	ds_write_b128 v125, v[40:43] offset:768
	ds_write_b128 v52, v[44:47]
	ds_write_b128 v125, v[48:51] offset:1024
.LBB0_13:
	s_or_b32 exec_lo, exec_lo, s0
	s_waitcnt lgkmcnt(0)
	s_barrier
	buffer_gl0_inv
	ds_read_b128 v[56:59], v120
	ds_read_b128 v[52:55], v120 offset:144
	ds_read_b128 v[84:87], v120 offset:384
	;; [unrolled: 1-line block ×5, first 2 shown]
	v_add_nc_u32_e32 v92, 0x90, v120
	s_and_saveexec_b32 s0, vcc_lo
	s_cbranch_execz .LBB0_15
; %bb.14:
	ds_read_b128 v[40:43], v124 offset:288
	ds_read_b128 v[44:47], v120 offset:672
	;; [unrolled: 1-line block ×3, first 2 shown]
.LBB0_15:
	s_or_b32 exec_lo, exec_lo, s0
	s_waitcnt lgkmcnt(3)
	v_mul_f64 v[93:94], v[78:79], v[86:87]
	s_waitcnt lgkmcnt(1)
	v_mul_f64 v[95:96], v[66:67], v[90:91]
	v_mul_f64 v[78:79], v[78:79], v[84:85]
	;; [unrolled: 1-line block ×4, first 2 shown]
	s_waitcnt lgkmcnt(0)
	v_mul_f64 v[99:100], v[70:71], v[82:83]
	v_mul_f64 v[74:75], v[74:75], v[60:61]
	;; [unrolled: 1-line block ×3, first 2 shown]
	s_mov_b32 s0, 0xe8584caa
	s_mov_b32 s1, 0xbfebb67a
	;; [unrolled: 1-line block ×3, first 2 shown]
	v_fma_f64 v[84:85], v[76:77], v[84:85], v[93:94]
	v_fma_f64 v[88:89], v[64:65], v[88:89], v[95:96]
	v_fma_f64 v[76:77], v[76:77], v[86:87], -v[78:79]
	v_fma_f64 v[64:65], v[64:65], v[90:91], -v[66:67]
	v_fma_f64 v[60:61], v[72:73], v[60:61], v[97:98]
	v_fma_f64 v[66:67], v[68:69], v[80:81], v[99:100]
	v_fma_f64 v[62:63], v[72:73], v[62:63], -v[74:75]
	v_fma_f64 v[68:69], v[68:69], v[82:83], -v[70:71]
	v_add_f64 v[80:81], v[56:57], v[84:85]
	v_add_f64 v[70:71], v[84:85], v[88:89]
	v_add_f64 v[84:85], v[84:85], -v[88:89]
	v_add_f64 v[72:73], v[76:77], v[64:65]
	v_add_f64 v[82:83], v[76:77], -v[64:65]
	v_add_f64 v[74:75], v[60:61], v[66:67]
	v_add_f64 v[76:77], v[58:59], v[76:77]
	;; [unrolled: 1-line block ×5, first 2 shown]
	v_add_f64 v[93:94], v[62:63], -v[68:69]
	v_add_f64 v[95:96], v[60:61], -v[66:67]
	v_fma_f64 v[70:71], v[70:71], -0.5, v[56:57]
	v_fma_f64 v[72:73], v[72:73], -0.5, v[58:59]
	;; [unrolled: 1-line block ×3, first 2 shown]
	v_add_f64 v[52:53], v[80:81], v[88:89]
	v_fma_f64 v[78:79], v[78:79], -0.5, v[54:55]
	v_add_f64 v[54:55], v[76:77], v[64:65]
	v_add_f64 v[56:57], v[86:87], v[66:67]
	;; [unrolled: 1-line block ×3, first 2 shown]
	v_fma_f64 v[60:61], v[82:83], s[0:1], v[70:71]
	v_fma_f64 v[64:65], v[82:83], s[4:5], v[70:71]
	v_fma_f64 v[62:63], v[84:85], s[4:5], v[72:73]
	v_fma_f64 v[66:67], v[84:85], s[0:1], v[72:73]
	v_fma_f64 v[68:69], v[93:94], s[0:1], v[74:75]
	v_fma_f64 v[72:73], v[93:94], s[4:5], v[74:75]
	v_fma_f64 v[70:71], v[95:96], s[4:5], v[78:79]
	v_fma_f64 v[74:75], v[95:96], s[0:1], v[78:79]
	ds_write_b128 v120, v[52:55]
	ds_write_b128 v124, v[60:63] offset:384
	ds_write_b128 v124, v[64:67] offset:768
	;; [unrolled: 1-line block ×5, first 2 shown]
	s_and_saveexec_b32 s6, vcc_lo
	s_cbranch_execz .LBB0_17
; %bb.16:
	v_mul_f64 v[52:53], v[38:39], v[44:45]
	v_mul_f64 v[54:55], v[34:35], v[48:49]
	;; [unrolled: 1-line block ×4, first 2 shown]
	v_fma_f64 v[46:47], v[36:37], v[46:47], -v[52:53]
	v_fma_f64 v[50:51], v[32:33], v[50:51], -v[54:55]
	v_fma_f64 v[36:37], v[36:37], v[44:45], v[38:39]
	v_fma_f64 v[32:33], v[32:33], v[48:49], v[34:35]
	v_add_f64 v[48:49], v[46:47], v[42:43]
	v_add_f64 v[34:35], v[46:47], v[50:51]
	v_add_f64 v[46:47], v[46:47], -v[50:51]
	v_add_f64 v[38:39], v[36:37], v[32:33]
	v_add_f64 v[44:45], v[36:37], -v[32:33]
	v_add_f64 v[36:37], v[36:37], v[40:41]
	v_fma_f64 v[42:43], v[34:35], -0.5, v[42:43]
	v_add_f64 v[34:35], v[50:51], v[48:49]
	v_fma_f64 v[52:53], v[38:39], -0.5, v[40:41]
	v_add_f64 v[32:33], v[36:37], v[32:33]
	v_fma_f64 v[38:39], v[44:45], s[0:1], v[42:43]
	v_fma_f64 v[42:43], v[44:45], s[4:5], v[42:43]
	;; [unrolled: 1-line block ×4, first 2 shown]
	ds_write_b128 v124, v[32:35] offset:288
	ds_write_b128 v124, v[40:43] offset:672
	;; [unrolled: 1-line block ×3, first 2 shown]
.LBB0_17:
	s_or_b32 exec_lo, exec_lo, s6
	s_waitcnt lgkmcnt(0)
	s_barrier
	buffer_gl0_inv
	ds_read_b128 v[32:35], v120
	ds_read_b128 v[36:39], v120 offset:144
	ds_read_b128 v[40:43], v124 offset:288
	;; [unrolled: 1-line block ×5, first 2 shown]
	v_mad_u64_u32 v[64:65], null, s10, v116, 0
	v_mad_u64_u32 v[66:67], null, s8, v119, 0
	ds_read_b128 v[56:59], v120 offset:864
	ds_read_b128 v[60:63], v120 offset:1008
	s_mov_b32 s0, 0x1c71c71c
	s_mov_b32 s1, 0x3f8c71c7
	s_mul_i32 s4, s9, 0x90
	s_mul_hi_u32 s5, s8, 0x90
	v_mad_u64_u32 v[72:73], null, s11, v116, v[65:66]
	s_add_i32 s5, s5, s4
	s_waitcnt lgkmcnt(7)
	v_mul_f64 v[68:69], v[2:3], v[34:35]
	v_mul_f64 v[2:3], v[2:3], v[32:33]
	s_waitcnt lgkmcnt(6)
	v_mul_f64 v[70:71], v[6:7], v[38:39]
	v_mul_f64 v[6:7], v[6:7], v[36:37]
	s_waitcnt lgkmcnt(4)
	v_mul_f64 v[76:77], v[14:15], v[46:47]
	v_mul_f64 v[14:15], v[14:15], v[44:45]
	s_waitcnt lgkmcnt(3)
	v_mul_f64 v[78:79], v[18:19], v[50:51]
	v_mul_f64 v[18:19], v[18:19], v[48:49]
	s_waitcnt lgkmcnt(2)
	v_mul_f64 v[80:81], v[22:23], v[54:55]
	v_mul_f64 v[22:23], v[22:23], v[52:53]
	v_mov_b32_e32 v65, v72
	v_mad_u64_u32 v[73:74], null, s9, v119, v[67:68]
	v_mul_f64 v[74:75], v[10:11], v[42:43]
	v_mul_f64 v[10:11], v[10:11], v[40:41]
	v_fma_f64 v[32:33], v[0:1], v[32:33], v[68:69]
	v_fma_f64 v[2:3], v[0:1], v[34:35], -v[2:3]
	v_fma_f64 v[34:35], v[4:5], v[36:37], v[70:71]
	s_waitcnt lgkmcnt(1)
	v_mul_f64 v[36:37], v[26:27], v[58:59]
	v_mul_f64 v[26:27], v[26:27], v[56:57]
	v_fma_f64 v[6:7], v[4:5], v[38:39], -v[6:7]
	s_waitcnt lgkmcnt(0)
	v_mul_f64 v[38:39], v[30:31], v[62:63]
	v_mul_f64 v[30:31], v[30:31], v[60:61]
	v_mov_b32_e32 v67, v73
	v_lshlrev_b64 v[0:1], 4, v[64:65]
	v_fma_f64 v[14:15], v[12:13], v[46:47], -v[14:15]
	v_fma_f64 v[18:19], v[16:17], v[50:51], -v[18:19]
	;; [unrolled: 1-line block ×3, first 2 shown]
	v_lshlrev_b64 v[4:5], 4, v[66:67]
	v_add_co_u32 v0, vcc_lo, s2, v0
	v_add_co_ci_u32_e32 v1, vcc_lo, s3, v1, vcc_lo
	s_mul_i32 s2, s8, 0x90
	v_fma_f64 v[40:41], v[8:9], v[40:41], v[74:75]
	v_add_co_u32 v64, vcc_lo, v0, v4
	v_fma_f64 v[10:11], v[8:9], v[42:43], -v[10:11]
	v_fma_f64 v[42:43], v[12:13], v[44:45], v[76:77]
	v_add_co_ci_u32_e32 v65, vcc_lo, v1, v5, vcc_lo
	v_mul_f64 v[0:1], v[32:33], s[0:1]
	v_fma_f64 v[32:33], v[16:17], v[48:49], v[78:79]
	v_mul_f64 v[4:5], v[34:35], s[0:1]
	v_fma_f64 v[34:35], v[20:21], v[52:53], v[80:81]
	v_fma_f64 v[36:37], v[24:25], v[56:57], v[36:37]
	v_fma_f64 v[26:27], v[24:25], v[58:59], -v[26:27]
	v_fma_f64 v[38:39], v[28:29], v[60:61], v[38:39]
	v_fma_f64 v[30:31], v[28:29], v[62:63], -v[30:31]
	v_mul_f64 v[2:3], v[2:3], s[0:1]
	v_add_co_u32 v44, vcc_lo, v64, s2
	v_add_co_ci_u32_e32 v45, vcc_lo, s5, v65, vcc_lo
	v_mul_f64 v[6:7], v[6:7], s[0:1]
	v_mul_f64 v[14:15], v[14:15], s[0:1]
	;; [unrolled: 1-line block ×3, first 2 shown]
	v_add_co_u32 v40, vcc_lo, v44, s2
	v_add_co_ci_u32_e32 v41, vcc_lo, s5, v45, vcc_lo
	v_mul_f64 v[12:13], v[42:43], s[0:1]
	v_add_co_u32 v42, vcc_lo, v40, s2
	v_mul_f64 v[10:11], v[10:11], s[0:1]
	v_add_co_ci_u32_e32 v43, vcc_lo, s5, v41, vcc_lo
	v_mul_f64 v[16:17], v[32:33], s[0:1]
	v_mul_f64 v[18:19], v[18:19], s[0:1]
	;; [unrolled: 1-line block ×8, first 2 shown]
	v_add_co_u32 v32, vcc_lo, v42, s2
	v_add_co_ci_u32_e32 v33, vcc_lo, s5, v43, vcc_lo
	global_store_dwordx4 v[64:65], v[0:3], off
	v_add_co_u32 v0, vcc_lo, v32, s2
	v_add_co_ci_u32_e32 v1, vcc_lo, s5, v33, vcc_lo
	global_store_dwordx4 v[44:45], v[4:7], off
	;; [unrolled: 3-line block ×4, first 2 shown]
	global_store_dwordx4 v[32:33], v[16:19], off
	global_store_dwordx4 v[0:1], v[20:23], off
	global_store_dwordx4 v[2:3], v[24:27], off
	global_store_dwordx4 v[4:5], v[28:31], off
.LBB0_18:
	s_endpgm
	.section	.rodata,"a",@progbits
	.p2align	6, 0x0
	.amdhsa_kernel bluestein_single_fwd_len72_dim1_dp_op_CI_CI
		.amdhsa_group_segment_fixed_size 8064
		.amdhsa_private_segment_fixed_size 0
		.amdhsa_kernarg_size 104
		.amdhsa_user_sgpr_count 6
		.amdhsa_user_sgpr_private_segment_buffer 1
		.amdhsa_user_sgpr_dispatch_ptr 0
		.amdhsa_user_sgpr_queue_ptr 0
		.amdhsa_user_sgpr_kernarg_segment_ptr 1
		.amdhsa_user_sgpr_dispatch_id 0
		.amdhsa_user_sgpr_flat_scratch_init 0
		.amdhsa_user_sgpr_private_segment_size 0
		.amdhsa_wavefront_size32 1
		.amdhsa_uses_dynamic_stack 0
		.amdhsa_system_sgpr_private_segment_wavefront_offset 0
		.amdhsa_system_sgpr_workgroup_id_x 1
		.amdhsa_system_sgpr_workgroup_id_y 0
		.amdhsa_system_sgpr_workgroup_id_z 0
		.amdhsa_system_sgpr_workgroup_info 0
		.amdhsa_system_vgpr_workitem_id 0
		.amdhsa_next_free_vgpr 175
		.amdhsa_next_free_sgpr 20
		.amdhsa_reserve_vcc 1
		.amdhsa_reserve_flat_scratch 0
		.amdhsa_float_round_mode_32 0
		.amdhsa_float_round_mode_16_64 0
		.amdhsa_float_denorm_mode_32 3
		.amdhsa_float_denorm_mode_16_64 3
		.amdhsa_dx10_clamp 1
		.amdhsa_ieee_mode 1
		.amdhsa_fp16_overflow 0
		.amdhsa_workgroup_processor_mode 1
		.amdhsa_memory_ordered 1
		.amdhsa_forward_progress 0
		.amdhsa_shared_vgpr_count 0
		.amdhsa_exception_fp_ieee_invalid_op 0
		.amdhsa_exception_fp_denorm_src 0
		.amdhsa_exception_fp_ieee_div_zero 0
		.amdhsa_exception_fp_ieee_overflow 0
		.amdhsa_exception_fp_ieee_underflow 0
		.amdhsa_exception_fp_ieee_inexact 0
		.amdhsa_exception_int_div_zero 0
	.end_amdhsa_kernel
	.text
.Lfunc_end0:
	.size	bluestein_single_fwd_len72_dim1_dp_op_CI_CI, .Lfunc_end0-bluestein_single_fwd_len72_dim1_dp_op_CI_CI
                                        ; -- End function
	.section	.AMDGPU.csdata,"",@progbits
; Kernel info:
; codeLenInByte = 6752
; NumSgprs: 22
; NumVgprs: 175
; ScratchSize: 0
; MemoryBound: 0
; FloatMode: 240
; IeeeMode: 1
; LDSByteSize: 8064 bytes/workgroup (compile time only)
; SGPRBlocks: 2
; VGPRBlocks: 21
; NumSGPRsForWavesPerEU: 22
; NumVGPRsForWavesPerEU: 175
; Occupancy: 5
; WaveLimiterHint : 1
; COMPUTE_PGM_RSRC2:SCRATCH_EN: 0
; COMPUTE_PGM_RSRC2:USER_SGPR: 6
; COMPUTE_PGM_RSRC2:TRAP_HANDLER: 0
; COMPUTE_PGM_RSRC2:TGID_X_EN: 1
; COMPUTE_PGM_RSRC2:TGID_Y_EN: 0
; COMPUTE_PGM_RSRC2:TGID_Z_EN: 0
; COMPUTE_PGM_RSRC2:TIDIG_COMP_CNT: 0
	.text
	.p2alignl 6, 3214868480
	.fill 48, 4, 3214868480
	.type	__hip_cuid_73df8b36ca1f965c,@object ; @__hip_cuid_73df8b36ca1f965c
	.section	.bss,"aw",@nobits
	.globl	__hip_cuid_73df8b36ca1f965c
__hip_cuid_73df8b36ca1f965c:
	.byte	0                               ; 0x0
	.size	__hip_cuid_73df8b36ca1f965c, 1

	.ident	"AMD clang version 19.0.0git (https://github.com/RadeonOpenCompute/llvm-project roc-6.4.0 25133 c7fe45cf4b819c5991fe208aaa96edf142730f1d)"
	.section	".note.GNU-stack","",@progbits
	.addrsig
	.addrsig_sym __hip_cuid_73df8b36ca1f965c
	.amdgpu_metadata
---
amdhsa.kernels:
  - .args:
      - .actual_access:  read_only
        .address_space:  global
        .offset:         0
        .size:           8
        .value_kind:     global_buffer
      - .actual_access:  read_only
        .address_space:  global
        .offset:         8
        .size:           8
        .value_kind:     global_buffer
      - .actual_access:  read_only
        .address_space:  global
        .offset:         16
        .size:           8
        .value_kind:     global_buffer
      - .actual_access:  read_only
        .address_space:  global
        .offset:         24
        .size:           8
        .value_kind:     global_buffer
      - .actual_access:  read_only
        .address_space:  global
        .offset:         32
        .size:           8
        .value_kind:     global_buffer
      - .offset:         40
        .size:           8
        .value_kind:     by_value
      - .address_space:  global
        .offset:         48
        .size:           8
        .value_kind:     global_buffer
      - .address_space:  global
        .offset:         56
        .size:           8
        .value_kind:     global_buffer
      - .address_space:  global
        .offset:         64
        .size:           8
        .value_kind:     global_buffer
      - .address_space:  global
        .offset:         72
        .size:           8
        .value_kind:     global_buffer
      - .offset:         80
        .size:           4
        .value_kind:     by_value
      - .address_space:  global
        .offset:         88
        .size:           8
        .value_kind:     global_buffer
      - .address_space:  global
        .offset:         96
        .size:           8
        .value_kind:     global_buffer
    .group_segment_fixed_size: 8064
    .kernarg_segment_align: 8
    .kernarg_segment_size: 104
    .language:       OpenCL C
    .language_version:
      - 2
      - 0
    .max_flat_workgroup_size: 63
    .name:           bluestein_single_fwd_len72_dim1_dp_op_CI_CI
    .private_segment_fixed_size: 0
    .sgpr_count:     22
    .sgpr_spill_count: 0
    .symbol:         bluestein_single_fwd_len72_dim1_dp_op_CI_CI.kd
    .uniform_work_group_size: 1
    .uses_dynamic_stack: false
    .vgpr_count:     175
    .vgpr_spill_count: 0
    .wavefront_size: 32
    .workgroup_processor_mode: 1
amdhsa.target:   amdgcn-amd-amdhsa--gfx1030
amdhsa.version:
  - 1
  - 2
...

	.end_amdgpu_metadata
